;; amdgpu-corpus repo=ROCm/rocFFT kind=compiled arch=gfx1100 opt=O3
	.text
	.amdgcn_target "amdgcn-amd-amdhsa--gfx1100"
	.amdhsa_code_object_version 6
	.protected	fft_rtc_fwd_len130_factors_13_10_wgs_52_tpt_13_dp_ip_CI_sbrr_dirReg ; -- Begin function fft_rtc_fwd_len130_factors_13_10_wgs_52_tpt_13_dp_ip_CI_sbrr_dirReg
	.globl	fft_rtc_fwd_len130_factors_13_10_wgs_52_tpt_13_dp_ip_CI_sbrr_dirReg
	.p2align	8
	.type	fft_rtc_fwd_len130_factors_13_10_wgs_52_tpt_13_dp_ip_CI_sbrr_dirReg,@function
fft_rtc_fwd_len130_factors_13_10_wgs_52_tpt_13_dp_ip_CI_sbrr_dirReg: ; @fft_rtc_fwd_len130_factors_13_10_wgs_52_tpt_13_dp_ip_CI_sbrr_dirReg
; %bb.0:
	s_clause 0x2
	s_load_b64 s[12:13], s[0:1], 0x18
	s_load_b128 s[4:7], s[0:1], 0x0
	s_load_b64 s[10:11], s[0:1], 0x50
	v_mul_u32_u24_e32 v1, 0x13b2, v0
	v_mov_b32_e32 v3, 0
	v_mov_b32_e32 v4, 0
	s_delay_alu instid0(VALU_DEP_3) | instskip(SKIP_1) | instid1(VALU_DEP_2)
	v_lshrrev_b32_e32 v9, 16, v1
	v_mov_b32_e32 v1, 0
	v_lshl_add_u32 v5, s15, 2, v9
	s_delay_alu instid0(VALU_DEP_2) | instskip(SKIP_3) | instid1(VALU_DEP_1)
	v_mov_b32_e32 v6, v1
	s_waitcnt lgkmcnt(0)
	s_load_b64 s[8:9], s[12:13], 0x0
	v_cmp_lt_u64_e64 s2, s[6:7], 2
	s_and_b32 vcc_lo, exec_lo, s2
	s_cbranch_vccnz .LBB0_8
; %bb.1:
	s_load_b64 s[2:3], s[0:1], 0x10
	v_mov_b32_e32 v3, 0
	s_add_u32 s14, s12, 8
	v_mov_b32_e32 v4, 0
	s_addc_u32 s15, s13, 0
	s_mov_b64 s[18:19], 1
	s_waitcnt lgkmcnt(0)
	s_add_u32 s16, s2, 8
	s_addc_u32 s17, s3, 0
.LBB0_2:                                ; =>This Inner Loop Header: Depth=1
	s_load_b64 s[20:21], s[16:17], 0x0
                                        ; implicit-def: $vgpr7_vgpr8
	s_mov_b32 s2, exec_lo
	s_waitcnt lgkmcnt(0)
	v_or_b32_e32 v2, s21, v6
	s_delay_alu instid0(VALU_DEP_1)
	v_cmpx_ne_u64_e32 0, v[1:2]
	s_xor_b32 s3, exec_lo, s2
	s_cbranch_execz .LBB0_4
; %bb.3:                                ;   in Loop: Header=BB0_2 Depth=1
	v_cvt_f32_u32_e32 v2, s20
	v_cvt_f32_u32_e32 v7, s21
	s_sub_u32 s2, 0, s20
	s_subb_u32 s22, 0, s21
	s_delay_alu instid0(VALU_DEP_1) | instskip(NEXT) | instid1(VALU_DEP_1)
	v_fmac_f32_e32 v2, 0x4f800000, v7
	v_rcp_f32_e32 v2, v2
	s_waitcnt_depctr 0xfff
	v_mul_f32_e32 v2, 0x5f7ffffc, v2
	s_delay_alu instid0(VALU_DEP_1) | instskip(NEXT) | instid1(VALU_DEP_1)
	v_mul_f32_e32 v7, 0x2f800000, v2
	v_trunc_f32_e32 v7, v7
	s_delay_alu instid0(VALU_DEP_1) | instskip(SKIP_1) | instid1(VALU_DEP_2)
	v_fmac_f32_e32 v2, 0xcf800000, v7
	v_cvt_u32_f32_e32 v7, v7
	v_cvt_u32_f32_e32 v2, v2
	s_delay_alu instid0(VALU_DEP_2) | instskip(NEXT) | instid1(VALU_DEP_2)
	v_mul_lo_u32 v8, s2, v7
	v_mul_hi_u32 v10, s2, v2
	v_mul_lo_u32 v11, s22, v2
	s_delay_alu instid0(VALU_DEP_2) | instskip(SKIP_1) | instid1(VALU_DEP_2)
	v_add_nc_u32_e32 v8, v10, v8
	v_mul_lo_u32 v10, s2, v2
	v_add_nc_u32_e32 v8, v8, v11
	s_delay_alu instid0(VALU_DEP_2) | instskip(NEXT) | instid1(VALU_DEP_2)
	v_mul_hi_u32 v11, v2, v10
	v_mul_lo_u32 v12, v2, v8
	v_mul_hi_u32 v13, v2, v8
	v_mul_hi_u32 v14, v7, v10
	v_mul_lo_u32 v10, v7, v10
	v_mul_hi_u32 v15, v7, v8
	v_mul_lo_u32 v8, v7, v8
	v_add_co_u32 v11, vcc_lo, v11, v12
	v_add_co_ci_u32_e32 v12, vcc_lo, 0, v13, vcc_lo
	s_delay_alu instid0(VALU_DEP_2) | instskip(NEXT) | instid1(VALU_DEP_2)
	v_add_co_u32 v10, vcc_lo, v11, v10
	v_add_co_ci_u32_e32 v10, vcc_lo, v12, v14, vcc_lo
	v_add_co_ci_u32_e32 v11, vcc_lo, 0, v15, vcc_lo
	s_delay_alu instid0(VALU_DEP_2) | instskip(NEXT) | instid1(VALU_DEP_2)
	v_add_co_u32 v8, vcc_lo, v10, v8
	v_add_co_ci_u32_e32 v10, vcc_lo, 0, v11, vcc_lo
	s_delay_alu instid0(VALU_DEP_2) | instskip(NEXT) | instid1(VALU_DEP_2)
	v_add_co_u32 v2, vcc_lo, v2, v8
	v_add_co_ci_u32_e32 v7, vcc_lo, v7, v10, vcc_lo
	s_delay_alu instid0(VALU_DEP_2) | instskip(SKIP_1) | instid1(VALU_DEP_3)
	v_mul_hi_u32 v8, s2, v2
	v_mul_lo_u32 v11, s22, v2
	v_mul_lo_u32 v10, s2, v7
	s_delay_alu instid0(VALU_DEP_1) | instskip(SKIP_1) | instid1(VALU_DEP_2)
	v_add_nc_u32_e32 v8, v8, v10
	v_mul_lo_u32 v10, s2, v2
	v_add_nc_u32_e32 v8, v8, v11
	s_delay_alu instid0(VALU_DEP_2) | instskip(NEXT) | instid1(VALU_DEP_2)
	v_mul_hi_u32 v11, v2, v10
	v_mul_lo_u32 v12, v2, v8
	v_mul_hi_u32 v13, v2, v8
	v_mul_hi_u32 v14, v7, v10
	v_mul_lo_u32 v10, v7, v10
	v_mul_hi_u32 v15, v7, v8
	v_mul_lo_u32 v8, v7, v8
	v_add_co_u32 v11, vcc_lo, v11, v12
	v_add_co_ci_u32_e32 v12, vcc_lo, 0, v13, vcc_lo
	s_delay_alu instid0(VALU_DEP_2) | instskip(NEXT) | instid1(VALU_DEP_2)
	v_add_co_u32 v10, vcc_lo, v11, v10
	v_add_co_ci_u32_e32 v10, vcc_lo, v12, v14, vcc_lo
	v_add_co_ci_u32_e32 v11, vcc_lo, 0, v15, vcc_lo
	s_delay_alu instid0(VALU_DEP_2) | instskip(NEXT) | instid1(VALU_DEP_2)
	v_add_co_u32 v8, vcc_lo, v10, v8
	v_add_co_ci_u32_e32 v10, vcc_lo, 0, v11, vcc_lo
	s_delay_alu instid0(VALU_DEP_2) | instskip(NEXT) | instid1(VALU_DEP_2)
	v_add_co_u32 v2, vcc_lo, v2, v8
	v_add_co_ci_u32_e32 v14, vcc_lo, v7, v10, vcc_lo
	s_delay_alu instid0(VALU_DEP_2) | instskip(SKIP_1) | instid1(VALU_DEP_3)
	v_mul_hi_u32 v15, v5, v2
	v_mad_u64_u32 v[10:11], null, v6, v2, 0
	v_mad_u64_u32 v[7:8], null, v5, v14, 0
	v_mad_u64_u32 v[12:13], null, v6, v14, 0
	s_delay_alu instid0(VALU_DEP_2) | instskip(NEXT) | instid1(VALU_DEP_3)
	v_add_co_u32 v2, vcc_lo, v15, v7
	v_add_co_ci_u32_e32 v7, vcc_lo, 0, v8, vcc_lo
	s_delay_alu instid0(VALU_DEP_2) | instskip(NEXT) | instid1(VALU_DEP_2)
	v_add_co_u32 v2, vcc_lo, v2, v10
	v_add_co_ci_u32_e32 v2, vcc_lo, v7, v11, vcc_lo
	v_add_co_ci_u32_e32 v7, vcc_lo, 0, v13, vcc_lo
	s_delay_alu instid0(VALU_DEP_2) | instskip(NEXT) | instid1(VALU_DEP_2)
	v_add_co_u32 v2, vcc_lo, v2, v12
	v_add_co_ci_u32_e32 v10, vcc_lo, 0, v7, vcc_lo
	s_delay_alu instid0(VALU_DEP_2) | instskip(SKIP_1) | instid1(VALU_DEP_3)
	v_mul_lo_u32 v11, s21, v2
	v_mad_u64_u32 v[7:8], null, s20, v2, 0
	v_mul_lo_u32 v12, s20, v10
	s_delay_alu instid0(VALU_DEP_2) | instskip(NEXT) | instid1(VALU_DEP_2)
	v_sub_co_u32 v7, vcc_lo, v5, v7
	v_add3_u32 v8, v8, v12, v11
	s_delay_alu instid0(VALU_DEP_1) | instskip(NEXT) | instid1(VALU_DEP_1)
	v_sub_nc_u32_e32 v11, v6, v8
	v_subrev_co_ci_u32_e64 v11, s2, s21, v11, vcc_lo
	v_add_co_u32 v12, s2, v2, 2
	s_delay_alu instid0(VALU_DEP_1) | instskip(SKIP_3) | instid1(VALU_DEP_3)
	v_add_co_ci_u32_e64 v13, s2, 0, v10, s2
	v_sub_co_u32 v14, s2, v7, s20
	v_sub_co_ci_u32_e32 v8, vcc_lo, v6, v8, vcc_lo
	v_subrev_co_ci_u32_e64 v11, s2, 0, v11, s2
	v_cmp_le_u32_e32 vcc_lo, s20, v14
	s_delay_alu instid0(VALU_DEP_3) | instskip(SKIP_1) | instid1(VALU_DEP_4)
	v_cmp_eq_u32_e64 s2, s21, v8
	v_cndmask_b32_e64 v14, 0, -1, vcc_lo
	v_cmp_le_u32_e32 vcc_lo, s21, v11
	v_cndmask_b32_e64 v15, 0, -1, vcc_lo
	v_cmp_le_u32_e32 vcc_lo, s20, v7
	;; [unrolled: 2-line block ×3, first 2 shown]
	v_cndmask_b32_e64 v16, 0, -1, vcc_lo
	v_cmp_eq_u32_e32 vcc_lo, s21, v11
	s_delay_alu instid0(VALU_DEP_2) | instskip(SKIP_3) | instid1(VALU_DEP_3)
	v_cndmask_b32_e64 v7, v16, v7, s2
	v_cndmask_b32_e32 v11, v15, v14, vcc_lo
	v_add_co_u32 v14, vcc_lo, v2, 1
	v_add_co_ci_u32_e32 v15, vcc_lo, 0, v10, vcc_lo
	v_cmp_ne_u32_e32 vcc_lo, 0, v11
	s_delay_alu instid0(VALU_DEP_2) | instskip(SKIP_1) | instid1(VALU_DEP_2)
	v_dual_cndmask_b32 v8, v15, v13 :: v_dual_cndmask_b32 v11, v14, v12
	v_cmp_ne_u32_e32 vcc_lo, 0, v7
	v_cndmask_b32_e32 v7, v2, v11, vcc_lo
	s_delay_alu instid0(VALU_DEP_3)
	v_cndmask_b32_e32 v8, v10, v8, vcc_lo
.LBB0_4:                                ;   in Loop: Header=BB0_2 Depth=1
	s_and_not1_saveexec_b32 s2, s3
	s_cbranch_execz .LBB0_6
; %bb.5:                                ;   in Loop: Header=BB0_2 Depth=1
	v_cvt_f32_u32_e32 v2, s20
	s_sub_i32 s3, 0, s20
	s_delay_alu instid0(VALU_DEP_1) | instskip(SKIP_2) | instid1(VALU_DEP_1)
	v_rcp_iflag_f32_e32 v2, v2
	s_waitcnt_depctr 0xfff
	v_mul_f32_e32 v2, 0x4f7ffffe, v2
	v_cvt_u32_f32_e32 v2, v2
	s_delay_alu instid0(VALU_DEP_1) | instskip(NEXT) | instid1(VALU_DEP_1)
	v_mul_lo_u32 v7, s3, v2
	v_mul_hi_u32 v7, v2, v7
	s_delay_alu instid0(VALU_DEP_1) | instskip(NEXT) | instid1(VALU_DEP_1)
	v_add_nc_u32_e32 v2, v2, v7
	v_mul_hi_u32 v2, v5, v2
	s_delay_alu instid0(VALU_DEP_1) | instskip(SKIP_1) | instid1(VALU_DEP_2)
	v_mul_lo_u32 v7, v2, s20
	v_add_nc_u32_e32 v8, 1, v2
	v_sub_nc_u32_e32 v7, v5, v7
	s_delay_alu instid0(VALU_DEP_1) | instskip(SKIP_1) | instid1(VALU_DEP_2)
	v_subrev_nc_u32_e32 v10, s20, v7
	v_cmp_le_u32_e32 vcc_lo, s20, v7
	v_dual_cndmask_b32 v7, v7, v10 :: v_dual_cndmask_b32 v2, v2, v8
	s_delay_alu instid0(VALU_DEP_1) | instskip(NEXT) | instid1(VALU_DEP_2)
	v_cmp_le_u32_e32 vcc_lo, s20, v7
	v_add_nc_u32_e32 v8, 1, v2
	s_delay_alu instid0(VALU_DEP_1)
	v_dual_cndmask_b32 v7, v2, v8 :: v_dual_mov_b32 v8, v1
.LBB0_6:                                ;   in Loop: Header=BB0_2 Depth=1
	s_or_b32 exec_lo, exec_lo, s2
	s_load_b64 s[2:3], s[14:15], 0x0
	s_delay_alu instid0(VALU_DEP_1) | instskip(NEXT) | instid1(VALU_DEP_2)
	v_mul_lo_u32 v2, v8, s20
	v_mul_lo_u32 v12, v7, s21
	v_mad_u64_u32 v[10:11], null, v7, s20, 0
	s_add_u32 s18, s18, 1
	s_addc_u32 s19, s19, 0
	s_add_u32 s14, s14, 8
	s_addc_u32 s15, s15, 0
	;; [unrolled: 2-line block ×3, first 2 shown]
	s_delay_alu instid0(VALU_DEP_1) | instskip(SKIP_1) | instid1(VALU_DEP_2)
	v_add3_u32 v2, v11, v12, v2
	v_sub_co_u32 v10, vcc_lo, v5, v10
	v_sub_co_ci_u32_e32 v2, vcc_lo, v6, v2, vcc_lo
	s_waitcnt lgkmcnt(0)
	s_delay_alu instid0(VALU_DEP_2) | instskip(NEXT) | instid1(VALU_DEP_2)
	v_mul_lo_u32 v11, s3, v10
	v_mul_lo_u32 v2, s2, v2
	v_mad_u64_u32 v[5:6], null, s2, v10, v[3:4]
	v_cmp_ge_u64_e64 s2, s[18:19], s[6:7]
	s_delay_alu instid0(VALU_DEP_1) | instskip(NEXT) | instid1(VALU_DEP_2)
	s_and_b32 vcc_lo, exec_lo, s2
	v_add3_u32 v4, v11, v6, v2
	s_delay_alu instid0(VALU_DEP_3)
	v_mov_b32_e32 v3, v5
	s_cbranch_vccnz .LBB0_9
; %bb.7:                                ;   in Loop: Header=BB0_2 Depth=1
	v_dual_mov_b32 v5, v7 :: v_dual_mov_b32 v6, v8
	s_branch .LBB0_2
.LBB0_8:
	v_dual_mov_b32 v8, v6 :: v_dual_mov_b32 v7, v5
.LBB0_9:
	s_lshl_b64 s[2:3], s[6:7], 3
	v_mul_hi_u32 v1, 0x13b13b14, v0
	s_add_u32 s2, s12, s2
	s_addc_u32 s3, s13, s3
	s_load_b64 s[0:1], s[0:1], 0x20
	s_load_b64 s[2:3], s[2:3], 0x0
	v_and_b32_e32 v2, 3, v9
	s_delay_alu instid0(VALU_DEP_2) | instskip(NEXT) | instid1(VALU_DEP_2)
	v_mul_u32_u24_e32 v1, 13, v1
	v_mul_u32_u24_e32 v5, 0x82, v2
	s_delay_alu instid0(VALU_DEP_2) | instskip(NEXT) | instid1(VALU_DEP_2)
	v_sub_nc_u32_e32 v80, v0, v1
	v_lshlrev_b32_e32 v84, 4, v5
	s_delay_alu instid0(VALU_DEP_2)
	v_lshlrev_b32_e32 v0, 4, v80
	v_add_nc_u32_e32 v81, 13, v80
	v_add_nc_u32_e32 v79, 26, v80
	v_add_nc_u32_e32 v77, 39, v80
	v_add_nc_u32_e32 v78, 52, v80
	s_waitcnt lgkmcnt(0)
	v_cmp_gt_u64_e32 vcc_lo, s[0:1], v[7:8]
	v_mul_lo_u32 v6, s2, v8
	v_mul_lo_u32 v9, s3, v7
	v_mad_u64_u32 v[1:2], null, s2, v7, v[3:4]
	v_add_nc_u32_e32 v76, 0x41, v80
	v_add_nc_u32_e32 v75, 0x4e, v80
	;; [unrolled: 1-line block ×5, first 2 shown]
	v_add3_u32 v2, v9, v2, v6
	s_delay_alu instid0(VALU_DEP_1)
	v_lshlrev_b64 v[52:53], 4, v[1:2]
	s_and_saveexec_b32 s1, vcc_lo
	s_cbranch_execz .LBB0_11
; %bb.10:
	v_mad_u64_u32 v[1:2], null, s8, v80, 0
	v_mad_u64_u32 v[3:4], null, s8, v81, 0
	;; [unrolled: 1-line block ×5, first 2 shown]
	s_delay_alu instid0(VALU_DEP_4) | instskip(NEXT) | instid1(VALU_DEP_4)
	v_mad_u64_u32 v[9:10], null, s9, v80, v[2:3]
	v_mad_u64_u32 v[10:11], null, s9, v81, v[4:5]
	;; [unrolled: 1-line block ×4, first 2 shown]
	s_delay_alu instid0(VALU_DEP_4) | instskip(SKIP_4) | instid1(VALU_DEP_3)
	v_mov_b32_e32 v2, v9
	v_add_co_u32 v39, s0, s10, v52
	v_mov_b32_e32 v4, v10
	v_mad_u64_u32 v[9:10], null, s9, v77, v[8:9]
	v_add_co_ci_u32_e64 v40, s0, s11, v53, s0
	v_lshlrev_b64 v[3:4], 4, v[3:4]
	v_mov_b32_e32 v6, v11
	v_mad_u64_u32 v[21:22], null, s8, v75, 0
	v_dual_mov_b32 v8, v9 :: v_dual_mov_b32 v9, v18
	v_lshlrev_b64 v[1:2], 4, v[1:2]
	v_add3_u32 v41, 0, v84, v0
	s_delay_alu instid0(VALU_DEP_2) | instskip(NEXT) | instid1(VALU_DEP_1)
	v_add_co_u32 v1, s0, v39, v1
	v_add_co_ci_u32_e64 v2, s0, v40, v2, s0
	v_add_co_u32 v10, s0, v39, v3
	s_delay_alu instid0(VALU_DEP_1) | instskip(SKIP_1) | instid1(VALU_DEP_1)
	v_add_co_ci_u32_e64 v11, s0, v40, v4, s0
	v_lshlrev_b64 v[3:4], 4, v[5:6]
	v_add_co_u32 v12, s0, v39, v3
	v_mov_b32_e32 v3, v20
	s_delay_alu instid0(VALU_DEP_3) | instskip(NEXT) | instid1(VALU_DEP_2)
	v_add_co_ci_u32_e64 v13, s0, v40, v4, s0
	v_mad_u64_u32 v[23:24], null, s9, v76, v[3:4]
	v_mad_u64_u32 v[24:25], null, s8, v73, 0
	s_delay_alu instid0(VALU_DEP_1) | instskip(NEXT) | instid1(VALU_DEP_1)
	v_dual_mov_b32 v20, v23 :: v_dual_mov_b32 v23, v25
	v_mad_u64_u32 v[25:26], null, s9, v75, v[22:23]
	v_mad_u64_u32 v[26:27], null, s8, v74, 0
	s_delay_alu instid0(VALU_DEP_4) | instskip(SKIP_1) | instid1(VALU_DEP_3)
	v_mad_u64_u32 v[28:29], null, s9, v73, v[23:24]
	v_mad_u64_u32 v[29:30], null, s8, v72, 0
	v_dual_mov_b32 v22, v25 :: v_dual_mov_b32 v23, v27
	v_lshlrev_b64 v[5:6], 4, v[7:8]
	v_mad_u64_u32 v[7:8], null, s9, v78, v[9:10]
	v_mov_b32_e32 v25, v28
	s_delay_alu instid0(VALU_DEP_4)
	v_mad_u64_u32 v[27:28], null, s9, v74, v[23:24]
	v_mov_b32_e32 v23, v30
	v_add_co_u32 v14, s0, v39, v5
	v_mov_b32_e32 v18, v7
	v_lshlrev_b64 v[19:20], 4, v[19:20]
	v_add_co_ci_u32_e64 v15, s0, v40, v6, s0
	s_clause 0x3
	global_load_b128 v[1:4], v[1:2], off
	global_load_b128 v[5:8], v[10:11], off
	;; [unrolled: 1-line block ×4, first 2 shown]
	v_lshlrev_b64 v[17:18], 4, v[17:18]
	s_delay_alu instid0(VALU_DEP_1) | instskip(NEXT) | instid1(VALU_DEP_1)
	v_add_co_u32 v17, s0, v39, v17
	v_add_co_ci_u32_e64 v18, s0, v40, v18, s0
	v_add_co_u32 v31, s0, v39, v19
	s_delay_alu instid0(VALU_DEP_1) | instskip(SKIP_3) | instid1(VALU_DEP_3)
	v_add_co_ci_u32_e64 v32, s0, v40, v20, s0
	v_lshlrev_b64 v[19:20], 4, v[21:22]
	v_mad_u64_u32 v[21:22], null, s9, v72, v[23:24]
	v_lshlrev_b64 v[22:23], 4, v[24:25]
	v_add_co_u32 v33, s0, v39, v19
	s_delay_alu instid0(VALU_DEP_1) | instskip(NEXT) | instid1(VALU_DEP_4)
	v_add_co_ci_u32_e64 v34, s0, v40, v20, s0
	v_mov_b32_e32 v30, v21
	v_lshlrev_b64 v[19:20], 4, v[26:27]
	v_add_co_u32 v35, s0, v39, v22
	s_delay_alu instid0(VALU_DEP_1) | instskip(NEXT) | instid1(VALU_DEP_4)
	v_add_co_ci_u32_e64 v36, s0, v40, v23, s0
	v_lshlrev_b64 v[21:22], 4, v[29:30]
	s_delay_alu instid0(VALU_DEP_4) | instskip(NEXT) | instid1(VALU_DEP_1)
	v_add_co_u32 v37, s0, v39, v19
	v_add_co_ci_u32_e64 v38, s0, v40, v20, s0
	s_delay_alu instid0(VALU_DEP_3) | instskip(NEXT) | instid1(VALU_DEP_1)
	v_add_co_u32 v39, s0, v39, v21
	v_add_co_ci_u32_e64 v40, s0, v40, v22, s0
	s_clause 0x5
	global_load_b128 v[17:20], v[17:18], off
	global_load_b128 v[21:24], v[31:32], off
	;; [unrolled: 1-line block ×6, first 2 shown]
	s_waitcnt vmcnt(9)
	ds_store_b128 v41, v[1:4]
	s_waitcnt vmcnt(8)
	ds_store_b128 v41, v[5:8] offset:208
	s_waitcnt vmcnt(7)
	ds_store_b128 v41, v[9:12] offset:416
	;; [unrolled: 2-line block ×9, first 2 shown]
.LBB0_11:
	s_or_b32 exec_lo, exec_lo, s1
	v_add3_u32 v82, 0, v84, v0
	v_add3_u32 v83, 0, v0, v84
	s_waitcnt lgkmcnt(0)
	s_barrier
	buffer_gl0_inv
	ds_load_b128 v[24:27], v82
	ds_load_b128 v[48:51], v83 offset:160
	ds_load_b128 v[40:43], v83 offset:320
	;; [unrolled: 1-line block ×12, first 2 shown]
	s_mov_b32 s33, exec_lo
	s_waitcnt lgkmcnt(0)
	s_barrier
	buffer_gl0_inv
	v_cmpx_gt_u32_e32 10, v80
	s_cbranch_execz .LBB0_13
; %bb.12:
	v_add_f64 v[54:55], v[26:27], v[50:51]
	v_add_f64 v[58:59], v[24:25], v[48:49]
	;; [unrolled: 1-line block ×3, first 2 shown]
	v_add_f64 v[87:88], v[50:51], -v[2:3]
	s_mov_b32 s2, 0xd0032e0c
	s_mov_b32 s0, 0x93053d00
	;; [unrolled: 1-line block ×8, first 2 shown]
	v_add_f64 v[70:71], v[48:49], -v[0:1]
	v_add_f64 v[93:94], v[38:39], v[14:15]
	v_add_f64 v[95:96], v[48:49], v[0:1]
	;; [unrolled: 1-line block ×3, first 2 shown]
	v_add_f64 v[64:65], v[36:37], -v[12:13]
	v_add_f64 v[62:63], v[36:37], v[12:13]
	v_add_f64 v[99:100], v[38:39], -v[14:15]
	v_add_f64 v[103:104], v[42:43], v[6:7]
	s_mov_b32 s24, 0xebaa3ed8
	s_mov_b32 s30, 0x66966769
	;; [unrolled: 1-line block ×18, first 2 shown]
	v_add_f64 v[89:90], v[54:55], v[42:43]
	v_add_f64 v[91:92], v[58:59], v[40:41]
	v_add_f64 v[42:43], v[42:43], -v[6:7]
	v_mul_f64 v[107:108], v[85:86], s[0:1]
	v_mul_f64 v[111:112], v[85:86], s[2:3]
	;; [unrolled: 1-line block ×3, first 2 shown]
	s_mov_b32 s29, 0x3fefc445
	s_mov_b32 s35, 0xbfcea1e5
	;; [unrolled: 1-line block ×6, first 2 shown]
	v_add_f64 v[68:69], v[34:35], v[18:19]
	v_add_f64 v[60:61], v[32:33], -v[16:17]
	v_add_f64 v[48:49], v[32:33], v[16:17]
	v_add_f64 v[66:67], v[34:35], -v[18:19]
	v_add_f64 v[101:102], v[44:45], -v[8:9]
	;; [unrolled: 1-line block ×3, first 2 shown]
	v_add_f64 v[40:41], v[40:41], v[4:5]
	v_mul_f64 v[109:110], v[87:88], s[34:35]
	v_mul_f64 v[115:116], v[85:86], s[18:19]
	;; [unrolled: 1-line block ×14, first 2 shown]
	s_mov_b32 s41, 0x3fea55e2
	s_mov_b32 s37, 0x3fddbe06
	;; [unrolled: 1-line block ×4, first 2 shown]
	v_add_f64 v[56:57], v[30:31], v[22:23]
	v_add_f64 v[89:90], v[89:90], v[46:47]
	;; [unrolled: 1-line block ×3, first 2 shown]
	v_add_f64 v[46:47], v[46:47], -v[10:11]
	v_mul_f64 v[155:156], v[42:43], s[28:29]
	v_fma_f64 v[189:190], v[70:71], s[14:15], v[107:108]
	v_fma_f64 v[107:108], v[70:71], s[34:35], v[107:108]
	;; [unrolled: 1-line block ×5, first 2 shown]
	v_add_f64 v[50:51], v[28:29], -v[20:21]
	v_add_f64 v[54:55], v[28:29], v[20:21]
	v_add_f64 v[58:59], v[30:31], -v[22:23]
	v_add_f64 v[44:45], v[44:45], v[8:9]
	v_mul_f64 v[147:148], v[103:104], s[2:3]
	v_mul_f64 v[149:150], v[103:104], s[0:1]
	;; [unrolled: 1-line block ×7, first 2 shown]
	v_fma_f64 v[191:192], v[95:96], s[0:1], v[109:110]
	v_fma_f64 v[109:110], v[95:96], s[0:1], -v[109:110]
	v_fma_f64 v[113:114], v[95:96], s[2:3], -v[113:114]
	v_fma_f64 v[197:198], v[70:71], s[28:29], v[119:120]
	v_fma_f64 v[199:200], v[95:96], s[24:25], v[121:122]
	v_fma_f64 v[119:120], v[70:71], s[30:31], v[119:120]
	v_fma_f64 v[121:122], v[95:96], s[24:25], -v[121:122]
	v_fma_f64 v[201:202], v[70:71], s[40:41], v[123:124]
	v_fma_f64 v[203:204], v[95:96], s[12:13], v[125:126]
	v_fma_f64 v[123:124], v[70:71], s[22:23], v[123:124]
	v_fma_f64 v[125:126], v[95:96], s[12:13], -v[125:126]
	v_fma_f64 v[205:206], v[70:71], s[36:37], v[85:86]
	v_fma_f64 v[207:208], v[95:96], s[6:7], v[87:88]
	v_fma_f64 v[209:210], v[101:102], s[16:17], v[141:142]
	v_fma_f64 v[141:142], v[101:102], s[36:37], v[141:142]
	v_fma_f64 v[211:212], v[101:102], s[42:43], v[143:144]
	;; [unrolled: 1-line block ×4, first 2 shown]
	v_add_f64 v[38:39], v[89:90], v[38:39]
	v_add_f64 v[36:37], v[91:92], v[36:37]
	v_mul_f64 v[89:90], v[97:98], s[24:25]
	v_mul_f64 v[91:92], v[103:104], s[6:7]
	;; [unrolled: 1-line block ×5, first 2 shown]
	v_fma_f64 v[145:146], v[101:102], s[34:35], v[145:146]
	v_fma_f64 v[223:224], v[40:41], s[24:25], v[155:156]
	v_add_f64 v[107:108], v[26:27], v[107:108]
	v_add_f64 v[193:194], v[26:27], v[193:194]
	;; [unrolled: 1-line block ×4, first 2 shown]
	v_mul_f64 v[42:43], v[42:43], s[22:23]
	v_mul_f64 v[127:128], v[93:94], s[12:13]
	;; [unrolled: 1-line block ×8, first 2 shown]
	v_fma_f64 v[219:220], v[105:106], s[38:39], v[147:148]
	v_fma_f64 v[147:148], v[105:106], s[20:21], v[147:148]
	;; [unrolled: 1-line block ×4, first 2 shown]
	v_add_f64 v[189:190], v[26:27], v[189:190]
	v_fma_f64 v[155:156], v[40:41], s[24:25], -v[155:156]
	v_add_f64 v[191:192], v[24:25], v[191:192]
	v_add_f64 v[109:110], v[24:25], v[109:110]
	;; [unrolled: 1-line block ×13, first 2 shown]
	v_fma_f64 v[36:37], v[70:71], s[26:27], v[115:116]
	v_fma_f64 v[38:39], v[95:96], s[18:19], v[117:118]
	;; [unrolled: 1-line block ×3, first 2 shown]
	v_fma_f64 v[117:118], v[95:96], s[18:19], -v[117:118]
	v_fma_f64 v[70:71], v[70:71], s[16:17], v[85:86]
	v_fma_f64 v[85:86], v[95:96], s[6:7], -v[87:88]
	v_fma_f64 v[87:88], v[101:102], s[20:21], v[137:138]
	v_fma_f64 v[95:96], v[101:102], s[38:39], v[137:138]
	v_fma_f64 v[137:138], v[101:102], s[40:41], v[139:140]
	v_fma_f64 v[139:140], v[101:102], s[22:23], v[139:140]
	v_fma_f64 v[215:216], v[101:102], s[28:29], v[89:90]
	v_fma_f64 v[89:90], v[101:102], s[30:31], v[89:90]
	v_fma_f64 v[101:102], v[105:106], s[16:17], v[91:92]
	v_fma_f64 v[91:92], v[105:106], s[36:37], v[91:92]
	v_fma_f64 v[217:218], v[105:106], s[30:31], v[97:98]
	v_fma_f64 v[97:98], v[105:106], s[28:29], v[97:98]
	v_add_f64 v[205:206], v[26:27], v[205:206]
	v_add_f64 v[207:208], v[24:25], v[207:208]
	;; [unrolled: 1-line block ×3, first 2 shown]
	v_mul_f64 v[46:47], v[46:47], s[30:31]
	v_mul_f64 v[131:132], v[93:94], s[24:25]
	;; [unrolled: 1-line block ×9, first 2 shown]
	v_fma_f64 v[223:224], v[44:45], s[0:1], v[171:172]
	v_add_f64 v[113:114], v[155:156], v[113:114]
	v_add_f64 v[119:120], v[149:150], v[119:120]
	v_fma_f64 v[149:150], v[64:65], s[34:35], v[129:130]
	v_fma_f64 v[129:130], v[64:65], s[14:15], v[129:130]
	v_add_f64 v[197:198], v[221:222], v[197:198]
	v_mul_f64 v[173:174], v[99:100], s[40:41]
	v_mul_f64 v[99:100], v[99:100], s[42:43]
	v_add_f64 v[30:31], v[34:35], v[30:31]
	v_add_f64 v[28:29], v[32:33], v[28:29]
	v_fma_f64 v[32:33], v[105:106], s[26:27], v[151:152]
	v_fma_f64 v[34:35], v[105:106], s[42:43], v[151:152]
	;; [unrolled: 1-line block ×3, first 2 shown]
	v_fma_f64 v[153:154], v[40:41], s[6:7], -v[153:154]
	v_add_f64 v[36:37], v[26:27], v[36:37]
	v_add_f64 v[38:39], v[24:25], v[38:39]
	;; [unrolled: 1-line block ×6, first 2 shown]
	v_fma_f64 v[70:71], v[40:41], s[2:3], v[157:158]
	v_fma_f64 v[85:86], v[105:106], s[40:41], v[103:104]
	;; [unrolled: 1-line block ×3, first 2 shown]
	v_fma_f64 v[105:106], v[40:41], s[2:3], -v[157:158]
	v_fma_f64 v[157:158], v[40:41], s[0:1], v[159:160]
	v_fma_f64 v[159:160], v[40:41], s[0:1], -v[159:160]
	v_add_f64 v[91:92], v[91:92], v[107:108]
	v_fma_f64 v[107:108], v[44:45], s[12:13], v[165:166]
	v_add_f64 v[193:194], v[217:218], v[193:194]
	v_add_f64 v[97:98], v[97:98], v[111:112]
	;; [unrolled: 1-line block ×3, first 2 shown]
	v_fma_f64 v[165:166], v[44:45], s[12:13], -v[165:166]
	v_fma_f64 v[217:218], v[44:45], s[18:19], v[169:170]
	v_fma_f64 v[169:170], v[44:45], s[18:19], -v[169:170]
	v_fma_f64 v[111:112], v[44:45], s[0:1], -v[171:172]
	v_fma_f64 v[171:172], v[44:45], s[24:25], v[46:47]
	v_mul_f64 v[183:184], v[68:69], s[18:19]
	v_mul_f64 v[155:156], v[66:67], s[14:15]
	;; [unrolled: 1-line block ×4, first 2 shown]
	v_add_f64 v[119:120], v[143:144], v[119:120]
	v_mul_f64 v[221:222], v[58:59], s[28:29]
	v_fma_f64 v[143:144], v[62:63], s[18:19], v[99:100]
	v_add_f64 v[22:23], v[30:31], v[22:23]
	v_add_f64 v[20:21], v[28:29], v[20:21]
	v_fma_f64 v[28:29], v[40:41], s[18:19], v[161:162]
	v_fma_f64 v[30:31], v[40:41], s[18:19], -v[161:162]
	v_fma_f64 v[161:162], v[40:41], s[12:13], v[42:43]
	v_fma_f64 v[40:41], v[40:41], s[12:13], -v[42:43]
	v_mul_f64 v[42:43], v[66:67], s[36:37]
	v_add_f64 v[151:152], v[151:152], v[191:192]
	v_fma_f64 v[191:192], v[44:45], s[2:3], v[163:164]
	v_add_f64 v[109:110], v[153:154], v[109:110]
	v_fma_f64 v[153:154], v[44:45], s[6:7], v[167:168]
	v_fma_f64 v[167:168], v[44:45], s[6:7], -v[167:168]
	v_add_f64 v[36:37], v[219:220], v[36:37]
	v_add_f64 v[38:39], v[70:71], v[38:39]
	;; [unrolled: 1-line block ×5, first 2 shown]
	v_fma_f64 v[199:200], v[64:65], s[22:23], v[127:128]
	v_fma_f64 v[127:128], v[64:65], s[40:41], v[127:128]
	v_add_f64 v[91:92], v[95:96], v[91:92]
	v_add_f64 v[137:138], v[137:138], v[193:194]
	v_fma_f64 v[193:194], v[62:63], s[0:1], v[175:176]
	v_add_f64 v[107:108], v[107:108], v[195:196]
	v_add_f64 v[97:98], v[139:140], v[97:98]
	;; [unrolled: 1-line block ×4, first 2 shown]
	v_fma_f64 v[163:164], v[44:45], s[2:3], -v[163:164]
	v_fma_f64 v[44:45], v[44:45], s[24:25], -v[46:47]
	v_add_f64 v[26:27], v[103:104], v[26:27]
	v_mul_f64 v[46:47], v[68:69], s[0:1]
	v_mul_f64 v[219:220], v[68:69], s[12:13]
	;; [unrolled: 1-line block ×6, first 2 shown]
	v_add_f64 v[87:88], v[87:88], v[101:102]
	v_fma_f64 v[101:102], v[64:65], s[28:29], v[131:132]
	v_fma_f64 v[131:132], v[64:65], s[30:31], v[131:132]
	v_add_f64 v[18:19], v[22:23], v[18:19]
	v_add_f64 v[16:17], v[20:21], v[16:17]
	;; [unrolled: 1-line block ×9, first 2 shown]
	v_fma_f64 v[191:192], v[64:65], s[16:17], v[133:134]
	v_fma_f64 v[133:134], v[64:65], s[36:37], v[133:134]
	;; [unrolled: 1-line block ×3, first 2 shown]
	v_fma_f64 v[32:33], v[62:63], s[0:1], -v[175:176]
	v_fma_f64 v[121:122], v[62:63], s[24:25], v[177:178]
	v_fma_f64 v[139:140], v[62:63], s[24:25], -v[177:178]
	v_fma_f64 v[159:160], v[62:63], s[6:7], v[179:180]
	v_fma_f64 v[175:176], v[62:63], s[6:7], -v[179:180]
	v_fma_f64 v[123:124], v[48:49], s[6:7], v[42:43]
	v_fma_f64 v[125:126], v[60:61], s[36:37], v[187:188]
	v_add_f64 v[40:41], v[165:166], v[113:114]
	v_add_f64 v[36:37], v[209:210], v[36:37]
	;; [unrolled: 1-line block ×10, first 2 shown]
	v_fma_f64 v[129:130], v[64:65], s[20:21], v[135:136]
	v_fma_f64 v[135:136], v[64:65], s[26:27], v[93:94]
	;; [unrolled: 1-line block ×4, first 2 shown]
	v_fma_f64 v[137:138], v[62:63], s[2:3], -v[181:182]
	v_add_f64 v[34:35], v[145:146], v[34:35]
	v_add_f64 v[85:86], v[215:216], v[85:86]
	v_fma_f64 v[195:196], v[60:61], s[16:17], v[187:188]
	v_add_f64 v[113:114], v[211:212], v[197:198]
	v_add_f64 v[14:15], v[18:19], v[14:15]
	;; [unrolled: 1-line block ×8, first 2 shown]
	v_fma_f64 v[163:164], v[62:63], s[12:13], v[173:174]
	v_fma_f64 v[173:174], v[62:63], s[12:13], -v[173:174]
	v_mul_f64 v[66:67], v[66:67], s[38:39]
	v_fma_f64 v[62:63], v[62:63], s[18:19], -v[99:100]
	v_add_f64 v[26:27], v[89:90], v[26:27]
	v_add_f64 v[24:25], v[44:45], v[24:25]
	;; [unrolled: 1-line block ×3, first 2 shown]
	v_fma_f64 v[177:178], v[60:61], s[26:27], v[183:184]
	v_fma_f64 v[183:184], v[60:61], s[42:43], v[183:184]
	v_mul_f64 v[22:23], v[58:59], s[42:43]
	v_fma_f64 v[42:43], v[48:49], s[6:7], -v[42:43]
	v_mul_f64 v[20:21], v[56:57], s[18:19]
	v_add_f64 v[32:33], v[32:33], v[40:41]
	v_add_f64 v[36:37], v[101:102], v[36:37]
	;; [unrolled: 1-line block ×7, first 2 shown]
	v_fma_f64 v[115:116], v[60:61], s[40:41], v[219:220]
	v_add_f64 v[107:108], v[123:124], v[107:108]
	v_add_f64 v[97:98], v[125:126], v[97:98]
	v_fma_f64 v[119:120], v[48:49], s[12:13], v[70:71]
	v_fma_f64 v[121:122], v[60:61], s[22:23], v[219:220]
	;; [unrolled: 1-line block ×4, first 2 shown]
	v_mul_f64 v[131:132], v[56:57], s[6:7]
	v_add_f64 v[34:35], v[129:130], v[34:35]
	v_fma_f64 v[129:130], v[60:61], s[28:29], v[147:148]
	v_add_f64 v[85:86], v[135:136], v[85:86]
	v_fma_f64 v[117:118], v[48:49], s[24:25], -v[117:118]
	v_add_f64 v[10:11], v[14:15], v[10:11]
	v_add_f64 v[8:9], v[12:13], v[8:9]
	;; [unrolled: 1-line block ×4, first 2 shown]
	v_fma_f64 v[16:17], v[60:61], s[34:35], v[46:47]
	v_fma_f64 v[46:47], v[60:61], s[14:15], v[46:47]
	v_fma_f64 v[95:96], v[48:49], s[0:1], -v[155:156]
	v_add_f64 v[28:29], v[93:94], v[28:29]
	v_add_f64 v[30:31], v[137:138], v[30:31]
	v_fma_f64 v[135:136], v[60:61], s[20:21], v[68:69]
	v_fma_f64 v[60:61], v[60:61], s[38:39], v[68:69]
	v_mul_f64 v[68:69], v[58:59], s[36:37]
	v_add_f64 v[89:90], v[191:192], v[113:114]
	v_add_f64 v[113:114], v[195:196], v[127:128]
	v_fma_f64 v[70:71], v[48:49], s[12:13], -v[70:71]
	v_mul_f64 v[93:94], v[56:57], s[12:13]
	v_mul_f64 v[127:128], v[56:57], s[2:3]
	;; [unrolled: 1-line block ×4, first 2 shown]
	v_fma_f64 v[179:180], v[48:49], s[18:19], v[185:186]
	v_fma_f64 v[185:186], v[48:49], s[18:19], -v[185:186]
	v_add_f64 v[141:142], v[163:164], v[151:152]
	v_add_f64 v[109:110], v[173:174], v[109:110]
	;; [unrolled: 1-line block ×3, first 2 shown]
	v_fma_f64 v[18:19], v[48:49], s[0:1], v[155:156]
	v_add_f64 v[26:27], v[64:65], v[26:27]
	v_mul_f64 v[56:57], v[56:57], s[0:1]
	v_add_f64 v[24:25], v[62:63], v[24:25]
	v_fma_f64 v[62:63], v[48:49], s[2:3], -v[66:67]
	v_mul_f64 v[58:59], v[58:59], s[34:35]
	v_add_f64 v[111:112], v[143:144], v[111:112]
	v_fma_f64 v[48:49], v[48:49], s[2:3], v[66:67]
	v_fma_f64 v[66:67], v[54:55], s[18:19], v[22:23]
	v_add_f64 v[32:33], v[42:43], v[32:33]
	v_fma_f64 v[22:23], v[54:55], s[18:19], -v[22:23]
	v_add_f64 v[34:35], v[129:130], v[34:35]
	v_fma_f64 v[143:144], v[50:51], s[26:27], v[20:21]
	v_fma_f64 v[20:21], v[50:51], s[42:43], v[20:21]
	v_add_f64 v[91:92], v[183:184], v[91:92]
	v_fma_f64 v[139:140], v[50:51], s[28:29], v[189:190]
	v_fma_f64 v[99:100], v[50:51], s[30:31], v[189:190]
	;; [unrolled: 1-line block ×3, first 2 shown]
	v_add_f64 v[36:37], v[16:17], v[36:37]
	v_add_f64 v[40:41], v[46:47], v[40:41]
	;; [unrolled: 1-line block ×7, first 2 shown]
	v_fma_f64 v[123:124], v[50:51], s[36:37], v[131:132]
	v_fma_f64 v[125:126], v[54:55], s[6:7], -v[68:69]
	v_add_f64 v[44:45], v[115:116], v[89:90]
	v_add_f64 v[89:90], v[121:122], v[103:104]
	;; [unrolled: 1-line block ×3, first 2 shown]
	v_fma_f64 v[28:29], v[50:51], s[22:23], v[93:94]
	v_fma_f64 v[103:104], v[50:51], s[20:21], v[127:128]
	;; [unrolled: 1-line block ×3, first 2 shown]
	v_fma_f64 v[127:128], v[54:55], s[2:3], -v[137:138]
	v_fma_f64 v[93:94], v[50:51], s[40:41], v[93:94]
	v_fma_f64 v[129:130], v[54:55], s[12:13], -v[133:134]
	v_add_f64 v[105:106], v[179:180], v[141:142]
	v_add_f64 v[109:110], v[185:186], v[109:110]
	v_fma_f64 v[141:142], v[54:55], s[24:25], -v[221:222]
	v_add_f64 v[87:88], v[177:178], v[87:88]
	v_add_f64 v[38:39], v[18:19], v[38:39]
	v_fma_f64 v[119:120], v[54:55], s[12:13], v[133:134]
	v_fma_f64 v[121:122], v[50:51], s[16:17], v[131:132]
	v_add_f64 v[85:86], v[135:136], v[85:86]
	v_fma_f64 v[131:132], v[54:55], s[2:3], v[137:138]
	v_fma_f64 v[133:134], v[50:51], s[34:35], v[56:57]
	v_add_f64 v[60:61], v[60:61], v[26:27]
	v_add_f64 v[62:63], v[62:63], v[24:25]
	v_fma_f64 v[135:136], v[54:55], s[0:1], -v[58:59]
	v_add_f64 v[145:146], v[10:11], v[6:7]
	v_add_f64 v[147:148], v[8:9], v[4:5]
	v_fma_f64 v[50:51], v[50:51], s[14:15], v[56:57]
	v_fma_f64 v[56:57], v[54:55], s[6:7], v[68:69]
	;; [unrolled: 1-line block ×3, first 2 shown]
	v_add_f64 v[48:49], v[48:49], v[111:112]
	v_add_f64 v[16:17], v[22:23], v[32:33]
	;; [unrolled: 1-line block ×27, first 2 shown]
	v_mul_u32_u24_e32 v54, 0xd0, v80
	s_delay_alu instid0(VALU_DEP_1)
	v_add3_u32 v54, 0, v54, v84
	ds_store_b128 v54, v[32:35] offset:32
	ds_store_b128 v54, v[28:31] offset:48
	;; [unrolled: 1-line block ×9, first 2 shown]
	ds_store_b128 v54, v[0:3]
	ds_store_b128 v54, v[36:39] offset:160
	ds_store_b128 v54, v[40:43] offset:176
	ds_store_b128 v54, v[48:51] offset:192
.LBB0_13:
	s_or_b32 exec_lo, exec_lo, s33
	v_mul_u32_u24_e32 v0, 9, v80
	s_waitcnt lgkmcnt(0)
	s_barrier
	buffer_gl0_inv
	s_mov_b32 s2, 0x134454ff
	v_lshlrev_b32_e32 v32, 4, v0
	s_mov_b32 s3, 0x3fee6f0e
	s_mov_b32 s1, 0xbfee6f0e
	;; [unrolled: 1-line block ×4, first 2 shown]
	s_clause 0x8
	global_load_b128 v[0:3], v32, s[4:5] offset:32
	global_load_b128 v[4:7], v32, s[4:5] offset:64
	;; [unrolled: 1-line block ×4, first 2 shown]
	global_load_b128 v[16:19], v32, s[4:5]
	global_load_b128 v[20:23], v32, s[4:5] offset:16
	global_load_b128 v[24:27], v32, s[4:5] offset:48
	;; [unrolled: 1-line block ×4, first 2 shown]
	ds_load_b128 v[36:39], v83 offset:624
	ds_load_b128 v[40:43], v83 offset:1040
	;; [unrolled: 1-line block ×6, first 2 shown]
	s_mov_b32 s7, 0x3fe2cf23
	s_mov_b32 s5, 0xbfe2cf23
	;; [unrolled: 1-line block ×7, first 2 shown]
	s_waitcnt vmcnt(8) lgkmcnt(5)
	v_mul_f64 v[62:63], v[38:39], v[2:3]
	v_mul_f64 v[2:3], v[36:37], v[2:3]
	s_waitcnt vmcnt(7) lgkmcnt(4)
	v_mul_f64 v[64:65], v[42:43], v[6:7]
	v_mul_f64 v[6:7], v[40:41], v[6:7]
	s_waitcnt vmcnt(6) lgkmcnt(3)
	v_mul_f64 v[66:67], v[44:45], v[10:11]
	s_waitcnt vmcnt(5) lgkmcnt(2)
	v_mul_f64 v[68:69], v[48:49], v[14:15]
	v_mul_f64 v[14:15], v[50:51], v[14:15]
	;; [unrolled: 1-line block ×3, first 2 shown]
	s_waitcnt vmcnt(4) lgkmcnt(1)
	v_mul_f64 v[70:71], v[56:57], v[18:19]
	v_mul_f64 v[18:19], v[54:55], v[18:19]
	v_fma_f64 v[36:37], v[36:37], v[0:1], -v[62:63]
	v_fma_f64 v[38:39], v[38:39], v[0:1], v[2:3]
	v_fma_f64 v[40:41], v[40:41], v[4:5], -v[64:65]
	v_fma_f64 v[42:43], v[42:43], v[4:5], v[6:7]
	v_fma_f64 v[46:47], v[46:47], v[8:9], v[66:67]
	;; [unrolled: 1-line block ×3, first 2 shown]
	v_fma_f64 v[12:13], v[48:49], v[12:13], -v[14:15]
	v_fma_f64 v[14:15], v[44:45], v[8:9], -v[10:11]
	ds_load_b128 v[0:3], v83 offset:832
	ds_load_b128 v[4:7], v83 offset:1248
	;; [unrolled: 1-line block ×3, first 2 shown]
	s_waitcnt vmcnt(3) lgkmcnt(3)
	v_mul_f64 v[44:45], v[60:61], v[22:23]
	v_mul_f64 v[22:23], v[58:59], v[22:23]
	v_fma_f64 v[54:55], v[54:55], v[16:17], -v[70:71]
	v_fma_f64 v[16:17], v[56:57], v[16:17], v[18:19]
	s_waitcnt vmcnt(2) lgkmcnt(2)
	v_mul_f64 v[48:49], v[2:3], v[26:27]
	v_mul_f64 v[26:27], v[0:1], v[26:27]
	s_waitcnt vmcnt(1) lgkmcnt(1)
	v_mul_f64 v[62:63], v[6:7], v[30:31]
	s_waitcnt vmcnt(0) lgkmcnt(0)
	v_mul_f64 v[64:65], v[10:11], v[34:35]
	v_mul_f64 v[30:31], v[4:5], v[30:31]
	;; [unrolled: 1-line block ×3, first 2 shown]
	v_add_f64 v[70:71], v[40:41], -v[36:37]
	v_add_f64 v[86:87], v[38:39], -v[42:43]
	v_add_f64 v[18:19], v[42:43], v[46:47]
	v_add_f64 v[56:57], v[38:39], v[50:51]
	;; [unrolled: 1-line block ×4, first 2 shown]
	v_add_f64 v[84:85], v[14:15], -v[12:13]
	v_fma_f64 v[44:45], v[58:59], v[20:21], -v[44:45]
	v_fma_f64 v[20:21], v[60:61], v[20:21], v[22:23]
	v_add_f64 v[88:89], v[50:51], -v[46:47]
	v_add_f64 v[90:91], v[42:43], -v[38:39]
	;; [unrolled: 1-line block ×3, first 2 shown]
	v_fma_f64 v[22:23], v[0:1], v[24:25], -v[48:49]
	v_fma_f64 v[24:25], v[2:3], v[24:25], v[26:27]
	v_fma_f64 v[4:5], v[4:5], v[28:29], -v[62:63]
	v_fma_f64 v[8:9], v[8:9], v[32:33], -v[64:65]
	v_fma_f64 v[6:7], v[6:7], v[28:29], v[30:31]
	v_fma_f64 v[10:11], v[10:11], v[32:33], v[34:35]
	v_add_f64 v[26:27], v[38:39], -v[50:51]
	v_add_f64 v[30:31], v[36:37], -v[12:13]
	;; [unrolled: 1-line block ×4, first 2 shown]
	ds_load_b128 v[0:3], v82
	s_waitcnt lgkmcnt(0)
	s_barrier
	buffer_gl0_inv
	v_fma_f64 v[18:19], v[18:19], -0.5, v[16:17]
	v_fma_f64 v[34:35], v[56:57], -0.5, v[16:17]
	;; [unrolled: 1-line block ×4, first 2 shown]
	v_add_f64 v[66:67], v[36:37], -v[40:41]
	v_add_f64 v[68:69], v[12:13], -v[14:15]
	v_add_f64 v[36:37], v[54:55], v[36:37]
	v_add_f64 v[16:17], v[16:17], v[38:39]
	;; [unrolled: 1-line block ×8, first 2 shown]
	v_add_f64 v[104:105], v[20:21], -v[10:11]
	v_add_f64 v[110:111], v[44:45], -v[8:9]
	;; [unrolled: 1-line block ×4, first 2 shown]
	v_fma_f64 v[94:95], v[30:31], s[0:1], v[18:19]
	v_fma_f64 v[96:97], v[32:33], s[2:3], v[34:35]
	;; [unrolled: 1-line block ×8, first 2 shown]
	v_add_f64 v[36:37], v[36:37], v[40:41]
	v_add_f64 v[16:17], v[16:17], v[42:43]
	v_fma_f64 v[38:39], v[58:59], -0.5, v[0:1]
	v_fma_f64 v[0:1], v[60:61], -0.5, v[0:1]
	;; [unrolled: 1-line block ×3, first 2 shown]
	v_add_f64 v[58:59], v[66:67], v[68:69]
	v_add_f64 v[60:61], v[70:71], v[84:85]
	;; [unrolled: 1-line block ×3, first 2 shown]
	v_fma_f64 v[2:3], v[64:65], -0.5, v[2:3]
	v_add_f64 v[64:65], v[90:91], v[92:93]
	v_add_f64 v[86:87], v[10:11], -v[6:7]
	v_add_f64 v[88:89], v[6:7], -v[10:11]
	v_fma_f64 v[66:67], v[32:33], s[4:5], v[94:95]
	v_fma_f64 v[68:69], v[30:31], s[4:5], v[96:97]
	;; [unrolled: 1-line block ×8, first 2 shown]
	v_add_f64 v[32:33], v[44:45], -v[22:23]
	v_add_f64 v[44:45], v[22:23], -v[44:45]
	;; [unrolled: 1-line block ×4, first 2 shown]
	v_add_f64 v[22:23], v[102:103], v[22:23]
	v_add_f64 v[24:25], v[108:109], v[24:25]
	v_add_f64 v[34:35], v[8:9], -v[4:5]
	v_add_f64 v[48:49], v[4:5], -v[8:9]
	v_add_f64 v[14:15], v[36:37], v[14:15]
	v_add_f64 v[16:17], v[16:17], v[46:47]
	v_fma_f64 v[40:41], v[104:105], s[2:3], v[38:39]
	v_fma_f64 v[38:39], v[104:105], s[0:1], v[38:39]
	;; [unrolled: 1-line block ×16, first 2 shown]
	v_add_f64 v[20:21], v[20:21], v[88:89]
	v_add_f64 v[4:5], v[22:23], v[4:5]
	;; [unrolled: 1-line block ×6, first 2 shown]
	v_fma_f64 v[22:23], v[106:107], s[6:7], v[40:41]
	v_fma_f64 v[24:25], v[106:107], s[4:5], v[38:39]
	;; [unrolled: 1-line block ×8, first 2 shown]
	v_mul_f64 v[46:47], v[66:67], s[6:7]
	v_mul_f64 v[48:49], v[68:69], s[2:3]
	;; [unrolled: 1-line block ×8, first 2 shown]
	v_add_f64 v[4:5], v[4:5], v[8:9]
	v_add_f64 v[6:7], v[6:7], v[10:11]
	;; [unrolled: 1-line block ×4, first 2 shown]
	v_fma_f64 v[50:51], v[32:33], s[12:13], v[22:23]
	v_fma_f64 v[86:87], v[32:33], s[12:13], v[24:25]
	;; [unrolled: 1-line block ×10, first 2 shown]
	v_fma_f64 v[30:31], v[30:31], s[2:3], -v[54:55]
	v_fma_f64 v[36:37], v[18:19], s[6:7], -v[56:57]
	v_fma_f64 v[46:47], v[66:67], s[14:15], v[58:59]
	v_fma_f64 v[48:49], v[68:69], s[12:13], v[60:61]
	v_fma_f64 v[54:55], v[70:71], s[0:1], -v[62:63]
	v_fma_f64 v[56:57], v[84:85], s[4:5], -v[64:65]
	v_add_f64 v[0:1], v[4:5], v[8:9]
	v_add_f64 v[2:3], v[6:7], v[10:11]
	v_add_f64 v[4:5], v[4:5], -v[8:9]
	v_add_f64 v[6:7], v[6:7], -v[10:11]
	v_add_f64 v[8:9], v[50:51], v[24:25]
	v_add_f64 v[12:13], v[32:33], v[26:27]
	;; [unrolled: 1-line block ×8, first 2 shown]
	v_add_f64 v[24:25], v[50:51], -v[24:25]
	v_add_f64 v[28:29], v[32:33], -v[26:27]
	;; [unrolled: 1-line block ×8, first 2 shown]
	ds_store_b128 v83, v[0:3]
	ds_store_b128 v83, v[8:11] offset:208
	ds_store_b128 v83, v[12:15] offset:416
	;; [unrolled: 1-line block ×9, first 2 shown]
	s_waitcnt lgkmcnt(0)
	s_barrier
	buffer_gl0_inv
	s_and_saveexec_b32 s0, vcc_lo
	s_cbranch_execz .LBB0_15
; %bb.14:
	v_mad_u64_u32 v[8:9], null, s8, v80, 0
	v_mad_u64_u32 v[10:11], null, s8, v81, 0
	;; [unrolled: 1-line block ×3, first 2 shown]
	v_add_co_u32 v31, vcc_lo, s10, v52
	s_delay_alu instid0(VALU_DEP_4) | instskip(SKIP_3) | instid1(VALU_DEP_2)
	v_mov_b32_e32 v0, v9
	v_add_co_ci_u32_e32 v32, vcc_lo, s11, v53, vcc_lo
	v_mov_b32_e32 v1, v11
	v_mad_u64_u32 v[18:19], null, s8, v78, 0
	v_mad_u64_u32 v[14:15], null, s9, v80, v[0:1]
	;; [unrolled: 1-line block ×4, first 2 shown]
	ds_load_b128 v[0:3], v82
	ds_load_b128 v[4:7], v82 offset:208
	v_mov_b32_e32 v9, v14
	v_mov_b32_e32 v11, v15
	v_mad_u64_u32 v[14:15], null, s9, v79, v[13:14]
	v_mov_b32_e32 v15, v19
	s_delay_alu instid0(VALU_DEP_3) | instskip(NEXT) | instid1(VALU_DEP_3)
	v_lshlrev_b64 v[20:21], 4, v[10:11]
	v_dual_mov_b32 v13, v14 :: v_dual_mov_b32 v14, v17
	v_lshlrev_b64 v[8:9], 4, v[8:9]
	s_delay_alu instid0(VALU_DEP_2) | instskip(NEXT) | instid1(VALU_DEP_3)
	v_lshlrev_b64 v[12:13], 4, v[12:13]
	v_mad_u64_u32 v[24:25], null, s9, v77, v[14:15]
	s_delay_alu instid0(VALU_DEP_3) | instskip(NEXT) | instid1(VALU_DEP_4)
	v_add_co_u32 v22, vcc_lo, v31, v8
	v_add_co_ci_u32_e32 v23, vcc_lo, v32, v9, vcc_lo
	ds_load_b128 v[8:11], v82 offset:416
	v_add_co_u32 v20, vcc_lo, v31, v20
	v_add_co_ci_u32_e32 v21, vcc_lo, v32, v21, vcc_lo
	s_waitcnt lgkmcnt(2)
	global_store_b128 v[22:23], v[0:3], off
	s_waitcnt lgkmcnt(1)
	global_store_b128 v[20:21], v[4:7], off
	v_add_co_u32 v4, vcc_lo, v31, v12
	v_mad_u64_u32 v[25:26], null, s9, v78, v[15:16]
	v_add_co_ci_u32_e32 v5, vcc_lo, v32, v13, vcc_lo
	v_mad_u64_u32 v[12:13], null, s8, v76, 0
	v_mad_u64_u32 v[14:15], null, s8, v75, 0
	v_mad_u64_u32 v[22:23], null, s8, v72, 0
	v_mov_b32_e32 v17, v24
	ds_load_b128 v[0:3], v82 offset:624
	s_waitcnt lgkmcnt(1)
	global_store_b128 v[4:5], v[8:11], off
	ds_load_b128 v[4:7], v82 offset:832
	v_mov_b32_e32 v19, v25
	v_lshlrev_b64 v[8:9], 4, v[16:17]
	v_mad_u64_u32 v[16:17], null, s9, v76, v[13:14]
	v_mov_b32_e32 v13, v15
	s_delay_alu instid0(VALU_DEP_4) | instskip(SKIP_2) | instid1(VALU_DEP_4)
	v_lshlrev_b64 v[10:11], 4, v[18:19]
	v_mad_u64_u32 v[20:21], null, s8, v74, 0
	v_add_co_u32 v8, vcc_lo, v31, v8
	v_mad_u64_u32 v[17:18], null, s9, v75, v[13:14]
	v_add_co_ci_u32_e32 v9, vcc_lo, v32, v9, vcc_lo
	v_add_co_u32 v10, vcc_lo, v31, v10
	v_add_co_ci_u32_e32 v11, vcc_lo, v32, v11, vcc_lo
	v_mov_b32_e32 v13, v16
	v_mad_u64_u32 v[18:19], null, s8, v73, 0
	v_mov_b32_e32 v15, v17
	s_waitcnt lgkmcnt(1)
	global_store_b128 v[8:9], v[0:3], off
	s_waitcnt lgkmcnt(0)
	global_store_b128 v[10:11], v[4:7], off
	v_lshlrev_b64 v[4:5], 4, v[12:13]
	ds_load_b128 v[0:3], v82 offset:1040
	v_lshlrev_b64 v[7:8], 4, v[14:15]
	v_mov_b32_e32 v6, v19
	v_add_co_u32 v24, vcc_lo, v31, v4
	v_mov_b32_e32 v4, v21
	s_delay_alu instid0(VALU_DEP_3) | instskip(SKIP_1) | instid1(VALU_DEP_3)
	v_mad_u64_u32 v[9:10], null, s9, v73, v[6:7]
	v_add_co_ci_u32_e32 v25, vcc_lo, v32, v5, vcc_lo
	v_mad_u64_u32 v[5:6], null, s9, v74, v[4:5]
	v_mov_b32_e32 v4, v23
	v_add_co_u32 v26, vcc_lo, v31, v7
	v_mov_b32_e32 v19, v9
	v_add_co_ci_u32_e32 v27, vcc_lo, v32, v8, vcc_lo
	s_delay_alu instid0(VALU_DEP_4)
	v_mad_u64_u32 v[28:29], null, s9, v72, v[4:5]
	v_mov_b32_e32 v21, v5
	ds_load_b128 v[4:7], v82 offset:1248
	ds_load_b128 v[8:11], v82 offset:1456
	v_lshlrev_b64 v[29:30], 4, v[18:19]
	ds_load_b128 v[12:15], v82 offset:1664
	ds_load_b128 v[16:19], v82 offset:1872
	v_lshlrev_b64 v[20:21], 4, v[20:21]
	v_mov_b32_e32 v23, v28
	v_add_co_u32 v28, vcc_lo, v31, v29
	v_add_co_ci_u32_e32 v29, vcc_lo, v32, v30, vcc_lo
	s_delay_alu instid0(VALU_DEP_3) | instskip(SKIP_2) | instid1(VALU_DEP_3)
	v_lshlrev_b64 v[22:23], 4, v[22:23]
	v_add_co_u32 v20, vcc_lo, v31, v20
	v_add_co_ci_u32_e32 v21, vcc_lo, v32, v21, vcc_lo
	v_add_co_u32 v22, vcc_lo, v31, v22
	s_delay_alu instid0(VALU_DEP_4)
	v_add_co_ci_u32_e32 v23, vcc_lo, v32, v23, vcc_lo
	s_waitcnt lgkmcnt(4)
	global_store_b128 v[24:25], v[0:3], off
	s_waitcnt lgkmcnt(3)
	global_store_b128 v[26:27], v[4:7], off
	;; [unrolled: 2-line block ×5, first 2 shown]
.LBB0_15:
	s_nop 0
	s_sendmsg sendmsg(MSG_DEALLOC_VGPRS)
	s_endpgm
	.section	.rodata,"a",@progbits
	.p2align	6, 0x0
	.amdhsa_kernel fft_rtc_fwd_len130_factors_13_10_wgs_52_tpt_13_dp_ip_CI_sbrr_dirReg
		.amdhsa_group_segment_fixed_size 0
		.amdhsa_private_segment_fixed_size 0
		.amdhsa_kernarg_size 88
		.amdhsa_user_sgpr_count 15
		.amdhsa_user_sgpr_dispatch_ptr 0
		.amdhsa_user_sgpr_queue_ptr 0
		.amdhsa_user_sgpr_kernarg_segment_ptr 1
		.amdhsa_user_sgpr_dispatch_id 0
		.amdhsa_user_sgpr_private_segment_size 0
		.amdhsa_wavefront_size32 1
		.amdhsa_uses_dynamic_stack 0
		.amdhsa_enable_private_segment 0
		.amdhsa_system_sgpr_workgroup_id_x 1
		.amdhsa_system_sgpr_workgroup_id_y 0
		.amdhsa_system_sgpr_workgroup_id_z 0
		.amdhsa_system_sgpr_workgroup_info 0
		.amdhsa_system_vgpr_workitem_id 0
		.amdhsa_next_free_vgpr 225
		.amdhsa_next_free_sgpr 44
		.amdhsa_reserve_vcc 1
		.amdhsa_float_round_mode_32 0
		.amdhsa_float_round_mode_16_64 0
		.amdhsa_float_denorm_mode_32 3
		.amdhsa_float_denorm_mode_16_64 3
		.amdhsa_dx10_clamp 1
		.amdhsa_ieee_mode 1
		.amdhsa_fp16_overflow 0
		.amdhsa_workgroup_processor_mode 1
		.amdhsa_memory_ordered 1
		.amdhsa_forward_progress 0
		.amdhsa_shared_vgpr_count 0
		.amdhsa_exception_fp_ieee_invalid_op 0
		.amdhsa_exception_fp_denorm_src 0
		.amdhsa_exception_fp_ieee_div_zero 0
		.amdhsa_exception_fp_ieee_overflow 0
		.amdhsa_exception_fp_ieee_underflow 0
		.amdhsa_exception_fp_ieee_inexact 0
		.amdhsa_exception_int_div_zero 0
	.end_amdhsa_kernel
	.text
.Lfunc_end0:
	.size	fft_rtc_fwd_len130_factors_13_10_wgs_52_tpt_13_dp_ip_CI_sbrr_dirReg, .Lfunc_end0-fft_rtc_fwd_len130_factors_13_10_wgs_52_tpt_13_dp_ip_CI_sbrr_dirReg
                                        ; -- End function
	.section	.AMDGPU.csdata,"",@progbits
; Kernel info:
; codeLenInByte = 8584
; NumSgprs: 46
; NumVgprs: 225
; ScratchSize: 0
; MemoryBound: 0
; FloatMode: 240
; IeeeMode: 1
; LDSByteSize: 0 bytes/workgroup (compile time only)
; SGPRBlocks: 5
; VGPRBlocks: 28
; NumSGPRsForWavesPerEU: 46
; NumVGPRsForWavesPerEU: 225
; Occupancy: 6
; WaveLimiterHint : 1
; COMPUTE_PGM_RSRC2:SCRATCH_EN: 0
; COMPUTE_PGM_RSRC2:USER_SGPR: 15
; COMPUTE_PGM_RSRC2:TRAP_HANDLER: 0
; COMPUTE_PGM_RSRC2:TGID_X_EN: 1
; COMPUTE_PGM_RSRC2:TGID_Y_EN: 0
; COMPUTE_PGM_RSRC2:TGID_Z_EN: 0
; COMPUTE_PGM_RSRC2:TIDIG_COMP_CNT: 0
	.text
	.p2alignl 7, 3214868480
	.fill 96, 4, 3214868480
	.type	__hip_cuid_d82b921ef2b4f55f,@object ; @__hip_cuid_d82b921ef2b4f55f
	.section	.bss,"aw",@nobits
	.globl	__hip_cuid_d82b921ef2b4f55f
__hip_cuid_d82b921ef2b4f55f:
	.byte	0                               ; 0x0
	.size	__hip_cuid_d82b921ef2b4f55f, 1

	.ident	"AMD clang version 19.0.0git (https://github.com/RadeonOpenCompute/llvm-project roc-6.4.0 25133 c7fe45cf4b819c5991fe208aaa96edf142730f1d)"
	.section	".note.GNU-stack","",@progbits
	.addrsig
	.addrsig_sym __hip_cuid_d82b921ef2b4f55f
	.amdgpu_metadata
---
amdhsa.kernels:
  - .args:
      - .actual_access:  read_only
        .address_space:  global
        .offset:         0
        .size:           8
        .value_kind:     global_buffer
      - .offset:         8
        .size:           8
        .value_kind:     by_value
      - .actual_access:  read_only
        .address_space:  global
        .offset:         16
        .size:           8
        .value_kind:     global_buffer
      - .actual_access:  read_only
        .address_space:  global
        .offset:         24
        .size:           8
        .value_kind:     global_buffer
      - .offset:         32
        .size:           8
        .value_kind:     by_value
      - .actual_access:  read_only
        .address_space:  global
        .offset:         40
        .size:           8
        .value_kind:     global_buffer
      - .actual_access:  read_only
        .address_space:  global
        .offset:         48
        .size:           8
        .value_kind:     global_buffer
      - .offset:         56
        .size:           4
        .value_kind:     by_value
      - .actual_access:  read_only
        .address_space:  global
        .offset:         64
        .size:           8
        .value_kind:     global_buffer
      - .actual_access:  read_only
        .address_space:  global
        .offset:         72
        .size:           8
        .value_kind:     global_buffer
      - .address_space:  global
        .offset:         80
        .size:           8
        .value_kind:     global_buffer
    .group_segment_fixed_size: 0
    .kernarg_segment_align: 8
    .kernarg_segment_size: 88
    .language:       OpenCL C
    .language_version:
      - 2
      - 0
    .max_flat_workgroup_size: 52
    .name:           fft_rtc_fwd_len130_factors_13_10_wgs_52_tpt_13_dp_ip_CI_sbrr_dirReg
    .private_segment_fixed_size: 0
    .sgpr_count:     46
    .sgpr_spill_count: 0
    .symbol:         fft_rtc_fwd_len130_factors_13_10_wgs_52_tpt_13_dp_ip_CI_sbrr_dirReg.kd
    .uniform_work_group_size: 1
    .uses_dynamic_stack: false
    .vgpr_count:     225
    .vgpr_spill_count: 0
    .wavefront_size: 32
    .workgroup_processor_mode: 1
amdhsa.target:   amdgcn-amd-amdhsa--gfx1100
amdhsa.version:
  - 1
  - 2
...

	.end_amdgpu_metadata
